;; amdgpu-corpus repo=ROCm/rocFFT kind=compiled arch=gfx906 opt=O3
	.text
	.amdgcn_target "amdgcn-amd-amdhsa--gfx906"
	.amdhsa_code_object_version 6
	.protected	fft_rtc_fwd_len624_factors_13_4_6_2_wgs_52_tpt_52_dp_ip_CI_unitstride_sbrr_C2R_dirReg ; -- Begin function fft_rtc_fwd_len624_factors_13_4_6_2_wgs_52_tpt_52_dp_ip_CI_unitstride_sbrr_C2R_dirReg
	.globl	fft_rtc_fwd_len624_factors_13_4_6_2_wgs_52_tpt_52_dp_ip_CI_unitstride_sbrr_C2R_dirReg
	.p2align	8
	.type	fft_rtc_fwd_len624_factors_13_4_6_2_wgs_52_tpt_52_dp_ip_CI_unitstride_sbrr_C2R_dirReg,@function
fft_rtc_fwd_len624_factors_13_4_6_2_wgs_52_tpt_52_dp_ip_CI_unitstride_sbrr_C2R_dirReg: ; @fft_rtc_fwd_len624_factors_13_4_6_2_wgs_52_tpt_52_dp_ip_CI_unitstride_sbrr_C2R_dirReg
; %bb.0:
	s_load_dwordx2 s[2:3], s[4:5], 0x50
	s_load_dwordx4 s[8:11], s[4:5], 0x0
	s_load_dwordx2 s[12:13], s[4:5], 0x18
	v_mul_u32_u24_e32 v1, 0x4ed, v0
	v_add_u32_sdwa v5, s6, v1 dst_sel:DWORD dst_unused:UNUSED_PAD src0_sel:DWORD src1_sel:WORD_1
	v_mov_b32_e32 v3, 0
	s_waitcnt lgkmcnt(0)
	v_cmp_lt_u64_e64 s[0:1], s[10:11], 2
	v_mov_b32_e32 v1, 0
	v_mov_b32_e32 v6, v3
	s_and_b64 vcc, exec, s[0:1]
	v_mov_b32_e32 v2, 0
	s_cbranch_vccnz .LBB0_8
; %bb.1:
	s_load_dwordx2 s[0:1], s[4:5], 0x10
	s_add_u32 s6, s12, 8
	s_addc_u32 s7, s13, 0
	v_mov_b32_e32 v1, 0
	v_mov_b32_e32 v2, 0
	s_waitcnt lgkmcnt(0)
	s_add_u32 s14, s0, 8
	s_addc_u32 s15, s1, 0
	s_mov_b64 s[16:17], 1
.LBB0_2:                                ; =>This Inner Loop Header: Depth=1
	s_load_dwordx2 s[18:19], s[14:15], 0x0
                                        ; implicit-def: $vgpr7_vgpr8
	s_waitcnt lgkmcnt(0)
	v_or_b32_e32 v4, s19, v6
	v_cmp_ne_u64_e32 vcc, 0, v[3:4]
	s_and_saveexec_b64 s[0:1], vcc
	s_xor_b64 s[20:21], exec, s[0:1]
	s_cbranch_execz .LBB0_4
; %bb.3:                                ;   in Loop: Header=BB0_2 Depth=1
	v_cvt_f32_u32_e32 v4, s18
	v_cvt_f32_u32_e32 v7, s19
	s_sub_u32 s0, 0, s18
	s_subb_u32 s1, 0, s19
	v_mac_f32_e32 v4, 0x4f800000, v7
	v_rcp_f32_e32 v4, v4
	v_mul_f32_e32 v4, 0x5f7ffffc, v4
	v_mul_f32_e32 v7, 0x2f800000, v4
	v_trunc_f32_e32 v7, v7
	v_mac_f32_e32 v4, 0xcf800000, v7
	v_cvt_u32_f32_e32 v7, v7
	v_cvt_u32_f32_e32 v4, v4
	v_mul_lo_u32 v8, s0, v7
	v_mul_hi_u32 v9, s0, v4
	v_mul_lo_u32 v11, s1, v4
	v_mul_lo_u32 v10, s0, v4
	v_add_u32_e32 v8, v9, v8
	v_add_u32_e32 v8, v8, v11
	v_mul_hi_u32 v9, v4, v10
	v_mul_lo_u32 v11, v4, v8
	v_mul_hi_u32 v13, v4, v8
	v_mul_hi_u32 v12, v7, v10
	v_mul_lo_u32 v10, v7, v10
	v_mul_hi_u32 v14, v7, v8
	v_add_co_u32_e32 v9, vcc, v9, v11
	v_addc_co_u32_e32 v11, vcc, 0, v13, vcc
	v_mul_lo_u32 v8, v7, v8
	v_add_co_u32_e32 v9, vcc, v9, v10
	v_addc_co_u32_e32 v9, vcc, v11, v12, vcc
	v_addc_co_u32_e32 v10, vcc, 0, v14, vcc
	v_add_co_u32_e32 v8, vcc, v9, v8
	v_addc_co_u32_e32 v9, vcc, 0, v10, vcc
	v_add_co_u32_e32 v4, vcc, v4, v8
	v_addc_co_u32_e32 v7, vcc, v7, v9, vcc
	v_mul_lo_u32 v8, s0, v7
	v_mul_hi_u32 v9, s0, v4
	v_mul_lo_u32 v10, s1, v4
	v_mul_lo_u32 v11, s0, v4
	v_add_u32_e32 v8, v9, v8
	v_add_u32_e32 v8, v8, v10
	v_mul_lo_u32 v12, v4, v8
	v_mul_hi_u32 v13, v4, v11
	v_mul_hi_u32 v14, v4, v8
	;; [unrolled: 1-line block ×3, first 2 shown]
	v_mul_lo_u32 v11, v7, v11
	v_mul_hi_u32 v9, v7, v8
	v_add_co_u32_e32 v12, vcc, v13, v12
	v_addc_co_u32_e32 v13, vcc, 0, v14, vcc
	v_mul_lo_u32 v8, v7, v8
	v_add_co_u32_e32 v11, vcc, v12, v11
	v_addc_co_u32_e32 v10, vcc, v13, v10, vcc
	v_addc_co_u32_e32 v9, vcc, 0, v9, vcc
	v_add_co_u32_e32 v8, vcc, v10, v8
	v_addc_co_u32_e32 v9, vcc, 0, v9, vcc
	v_add_co_u32_e32 v4, vcc, v4, v8
	v_addc_co_u32_e32 v9, vcc, v7, v9, vcc
	v_mad_u64_u32 v[7:8], s[0:1], v5, v9, 0
	v_mul_hi_u32 v10, v5, v4
	v_add_co_u32_e32 v11, vcc, v10, v7
	v_addc_co_u32_e32 v12, vcc, 0, v8, vcc
	v_mad_u64_u32 v[7:8], s[0:1], v6, v4, 0
	v_mad_u64_u32 v[9:10], s[0:1], v6, v9, 0
	v_add_co_u32_e32 v4, vcc, v11, v7
	v_addc_co_u32_e32 v4, vcc, v12, v8, vcc
	v_addc_co_u32_e32 v7, vcc, 0, v10, vcc
	v_add_co_u32_e32 v4, vcc, v4, v9
	v_addc_co_u32_e32 v9, vcc, 0, v7, vcc
	v_mul_lo_u32 v10, s19, v4
	v_mul_lo_u32 v11, s18, v9
	v_mad_u64_u32 v[7:8], s[0:1], s18, v4, 0
	v_add3_u32 v8, v8, v11, v10
	v_sub_u32_e32 v10, v6, v8
	v_mov_b32_e32 v11, s19
	v_sub_co_u32_e32 v7, vcc, v5, v7
	v_subb_co_u32_e64 v10, s[0:1], v10, v11, vcc
	v_subrev_co_u32_e64 v11, s[0:1], s18, v7
	v_subbrev_co_u32_e64 v10, s[0:1], 0, v10, s[0:1]
	v_cmp_le_u32_e64 s[0:1], s19, v10
	v_cndmask_b32_e64 v12, 0, -1, s[0:1]
	v_cmp_le_u32_e64 s[0:1], s18, v11
	v_cndmask_b32_e64 v11, 0, -1, s[0:1]
	v_cmp_eq_u32_e64 s[0:1], s19, v10
	v_cndmask_b32_e64 v10, v12, v11, s[0:1]
	v_add_co_u32_e64 v11, s[0:1], 2, v4
	v_addc_co_u32_e64 v12, s[0:1], 0, v9, s[0:1]
	v_add_co_u32_e64 v13, s[0:1], 1, v4
	v_addc_co_u32_e64 v14, s[0:1], 0, v9, s[0:1]
	v_subb_co_u32_e32 v8, vcc, v6, v8, vcc
	v_cmp_ne_u32_e64 s[0:1], 0, v10
	v_cmp_le_u32_e32 vcc, s19, v8
	v_cndmask_b32_e64 v10, v14, v12, s[0:1]
	v_cndmask_b32_e64 v12, 0, -1, vcc
	v_cmp_le_u32_e32 vcc, s18, v7
	v_cndmask_b32_e64 v7, 0, -1, vcc
	v_cmp_eq_u32_e32 vcc, s19, v8
	v_cndmask_b32_e32 v7, v12, v7, vcc
	v_cmp_ne_u32_e32 vcc, 0, v7
	v_cndmask_b32_e64 v7, v13, v11, s[0:1]
	v_cndmask_b32_e32 v8, v9, v10, vcc
	v_cndmask_b32_e32 v7, v4, v7, vcc
.LBB0_4:                                ;   in Loop: Header=BB0_2 Depth=1
	s_andn2_saveexec_b64 s[0:1], s[20:21]
	s_cbranch_execz .LBB0_6
; %bb.5:                                ;   in Loop: Header=BB0_2 Depth=1
	v_cvt_f32_u32_e32 v4, s18
	s_sub_i32 s20, 0, s18
	v_rcp_iflag_f32_e32 v4, v4
	v_mul_f32_e32 v4, 0x4f7ffffe, v4
	v_cvt_u32_f32_e32 v4, v4
	v_mul_lo_u32 v7, s20, v4
	v_mul_hi_u32 v7, v4, v7
	v_add_u32_e32 v4, v4, v7
	v_mul_hi_u32 v4, v5, v4
	v_mul_lo_u32 v7, v4, s18
	v_add_u32_e32 v8, 1, v4
	v_sub_u32_e32 v7, v5, v7
	v_subrev_u32_e32 v9, s18, v7
	v_cmp_le_u32_e32 vcc, s18, v7
	v_cndmask_b32_e32 v7, v7, v9, vcc
	v_cndmask_b32_e32 v4, v4, v8, vcc
	v_add_u32_e32 v8, 1, v4
	v_cmp_le_u32_e32 vcc, s18, v7
	v_cndmask_b32_e32 v7, v4, v8, vcc
	v_mov_b32_e32 v8, v3
.LBB0_6:                                ;   in Loop: Header=BB0_2 Depth=1
	s_or_b64 exec, exec, s[0:1]
	v_mul_lo_u32 v4, v8, s18
	v_mul_lo_u32 v11, v7, s19
	v_mad_u64_u32 v[9:10], s[0:1], v7, s18, 0
	s_load_dwordx2 s[0:1], s[6:7], 0x0
	s_add_u32 s16, s16, 1
	v_add3_u32 v4, v10, v11, v4
	v_sub_co_u32_e32 v5, vcc, v5, v9
	v_subb_co_u32_e32 v4, vcc, v6, v4, vcc
	s_waitcnt lgkmcnt(0)
	v_mul_lo_u32 v4, s0, v4
	v_mul_lo_u32 v6, s1, v5
	v_mad_u64_u32 v[1:2], s[0:1], s0, v5, v[1:2]
	s_addc_u32 s17, s17, 0
	s_add_u32 s6, s6, 8
	v_add3_u32 v2, v6, v2, v4
	v_mov_b32_e32 v4, s10
	v_mov_b32_e32 v5, s11
	s_addc_u32 s7, s7, 0
	v_cmp_ge_u64_e32 vcc, s[16:17], v[4:5]
	s_add_u32 s14, s14, 8
	s_addc_u32 s15, s15, 0
	s_cbranch_vccnz .LBB0_9
; %bb.7:                                ;   in Loop: Header=BB0_2 Depth=1
	v_mov_b32_e32 v5, v7
	v_mov_b32_e32 v6, v8
	s_branch .LBB0_2
.LBB0_8:
	v_mov_b32_e32 v8, v6
	v_mov_b32_e32 v7, v5
.LBB0_9:
	s_lshl_b64 s[0:1], s[10:11], 3
	s_add_u32 s0, s12, s0
	s_addc_u32 s1, s13, s1
	s_load_dwordx2 s[6:7], s[0:1], 0x0
	s_load_dwordx2 s[10:11], s[4:5], 0x20
	s_waitcnt lgkmcnt(0)
	v_mad_u64_u32 v[1:2], s[0:1], s6, v7, v[1:2]
	s_mov_b32 s0, 0x4ec4ec5
	v_mul_lo_u32 v3, s6, v8
	v_mul_lo_u32 v4, s7, v7
	v_mul_hi_u32 v5, v0, s0
	v_cmp_gt_u64_e64 s[0:1], s[10:11], v[7:8]
	v_add3_u32 v2, v4, v2, v3
	v_mul_u32_u24_e32 v3, 52, v5
	v_sub_u32_e32 v4, v0, v3
	v_lshlrev_b64 v[54:55], 4, v[1:2]
	v_mov_b32_e32 v5, 0
	v_mov_b32_e32 v52, v4
	s_and_saveexec_b64 s[4:5], s[0:1]
	s_cbranch_execz .LBB0_13
; %bb.10:
	v_mov_b32_e32 v0, s3
	v_add_co_u32_e32 v3, vcc, s2, v54
	v_addc_co_u32_e32 v2, vcc, v0, v55, vcc
	v_lshlrev_b64 v[0:1], 4, v[4:5]
	s_movk_i32 s6, 0x1000
	v_add_co_u32_e32 v0, vcc, v3, v0
	v_addc_co_u32_e32 v1, vcc, v2, v1, vcc
	v_add_co_u32_e32 v46, vcc, s6, v0
	v_addc_co_u32_e32 v47, vcc, 0, v1, vcc
	global_load_dwordx4 v[6:9], v[0:1], off
	global_load_dwordx4 v[10:13], v[0:1], off offset:832
	global_load_dwordx4 v[14:17], v[0:1], off offset:1664
	;; [unrolled: 1-line block ×7, first 2 shown]
	v_add_co_u32_e32 v0, vcc, 0x2000, v0
	v_addc_co_u32_e32 v1, vcc, 0, v1, vcc
	global_load_dwordx4 v[38:41], v[46:47], off offset:2560
	global_load_dwordx4 v[42:45], v[46:47], off offset:3392
	s_nop 0
	global_load_dwordx4 v[46:49], v[0:1], off offset:128
	global_load_dwordx4 v[50:53], v[0:1], off offset:960
	v_lshl_add_u32 v0, v4, 4, 0
	v_cmp_eq_u32_e32 vcc, 51, v4
	s_waitcnt vmcnt(11)
	ds_write_b128 v0, v[6:9]
	s_waitcnt vmcnt(10)
	ds_write_b128 v0, v[10:13] offset:832
	s_waitcnt vmcnt(9)
	ds_write_b128 v0, v[14:17] offset:1664
	;; [unrolled: 2-line block ×11, first 2 shown]
	v_mov_b32_e32 v0, v4
	v_mov_b32_e32 v1, v5
	s_and_saveexec_b64 s[6:7], vcc
	s_cbranch_execz .LBB0_12
; %bb.11:
	v_add_co_u32_e32 v0, vcc, 0x2000, v3
	v_addc_co_u32_e32 v1, vcc, 0, v2, vcc
	global_load_dwordx4 v[2:5], v[0:1], off offset:1792
	v_mov_b32_e32 v6, 0
	v_mov_b32_e32 v0, 51
	;; [unrolled: 1-line block ×3, first 2 shown]
	s_waitcnt vmcnt(0)
	ds_write_b128 v6, v[2:5] offset:9984
	v_mov_b32_e32 v4, 51
.LBB0_12:
	s_or_b64 exec, exec, s[6:7]
	v_mov_b32_e32 v52, v4
	v_mov_b32_e32 v5, v1
	;; [unrolled: 1-line block ×3, first 2 shown]
.LBB0_13:
	s_or_b64 exec, exec, s[4:5]
	v_lshlrev_b32_e32 v0, 4, v52
	v_add_u32_e32 v90, 0, v0
	s_waitcnt lgkmcnt(0)
	; wave barrier
	s_waitcnt lgkmcnt(0)
	v_sub_u32_e32 v10, 0, v0
	ds_read_b64 v[6:7], v90
	ds_read_b64 v[8:9], v10 offset:9984
	s_add_u32 s6, s8, 0x2630
	v_lshlrev_b64 v[56:57], 4, v[4:5]
	s_addc_u32 s7, s9, 0
	v_cmp_ne_u32_e32 vcc, 0, v52
	s_waitcnt lgkmcnt(0)
	v_add_f64 v[0:1], v[6:7], v[8:9]
	v_add_f64 v[2:3], v[6:7], -v[8:9]
	s_and_saveexec_b64 s[4:5], vcc
	s_xor_b64 s[4:5], exec, s[4:5]
	s_cbranch_execz .LBB0_15
; %bb.14:
	v_mov_b32_e32 v1, s7
	v_add_co_u32_e32 v0, vcc, s6, v56
	v_addc_co_u32_e32 v1, vcc, v1, v57, vcc
	global_load_dwordx4 v[2:5], v[0:1], off
	ds_read_b64 v[0:1], v10 offset:9992
	ds_read_b64 v[11:12], v90 offset:8
	v_add_f64 v[13:14], v[6:7], v[8:9]
	v_add_f64 v[8:9], v[6:7], -v[8:9]
	s_waitcnt lgkmcnt(0)
	v_add_f64 v[15:16], v[0:1], v[11:12]
	v_add_f64 v[0:1], v[11:12], -v[0:1]
	s_waitcnt vmcnt(0)
	v_fma_f64 v[6:7], -v[8:9], v[4:5], v[13:14]
	v_fma_f64 v[11:12], v[15:16], v[4:5], -v[0:1]
	v_fma_f64 v[13:14], v[8:9], v[4:5], v[13:14]
	v_fma_f64 v[17:18], v[15:16], v[4:5], v[0:1]
	;; [unrolled: 1-line block ×4, first 2 shown]
	v_fma_f64 v[0:1], -v[15:16], v[2:3], v[13:14]
	v_fma_f64 v[2:3], v[8:9], v[2:3], v[17:18]
	ds_write_b128 v10, v[4:7] offset:9984
.LBB0_15:
	s_andn2_saveexec_b64 s[4:5], s[4:5]
	s_cbranch_execz .LBB0_17
; %bb.16:
	v_mov_b32_e32 v8, 0
	ds_read_b128 v[4:7], v8 offset:4992
	s_waitcnt lgkmcnt(0)
	v_add_f64 v[4:5], v[4:5], v[4:5]
	v_mul_f64 v[6:7], v[6:7], -2.0
	ds_write_b128 v8, v[4:7] offset:4992
.LBB0_17:
	s_or_b64 exec, exec, s[4:5]
	v_mov_b32_e32 v53, 0
	v_lshlrev_b64 v[58:59], 4, v[52:53]
	v_mov_b32_e32 v4, s7
	v_add_co_u32_e32 v23, vcc, s6, v58
	v_addc_co_u32_e32 v24, vcc, v4, v59, vcc
	global_load_dwordx4 v[4:7], v[23:24], off offset:832
	global_load_dwordx4 v[11:14], v[23:24], off offset:1664
	ds_write_b128 v90, v[0:3]
	ds_read_b128 v[0:3], v90 offset:832
	ds_read_b128 v[15:18], v10 offset:9152
	global_load_dwordx4 v[19:22], v[23:24], off offset:2496
	s_movk_i32 s33, 0x1000
	s_waitcnt lgkmcnt(0)
	v_add_f64 v[8:9], v[0:1], v[15:16]
	v_add_f64 v[25:26], v[17:18], v[2:3]
	v_add_f64 v[15:16], v[0:1], -v[15:16]
	v_add_f64 v[0:1], v[2:3], -v[17:18]
	s_waitcnt vmcnt(2)
	v_fma_f64 v[2:3], v[15:16], v[6:7], v[8:9]
	v_fma_f64 v[17:18], v[25:26], v[6:7], v[0:1]
	v_fma_f64 v[8:9], -v[15:16], v[6:7], v[8:9]
	v_fma_f64 v[27:28], v[25:26], v[6:7], -v[0:1]
	v_fma_f64 v[0:1], -v[25:26], v[4:5], v[2:3]
	v_fma_f64 v[2:3], v[15:16], v[4:5], v[17:18]
	v_fma_f64 v[6:7], v[25:26], v[4:5], v[8:9]
	v_fma_f64 v[8:9], v[15:16], v[4:5], v[27:28]
	ds_write_b128 v90, v[0:3] offset:832
	ds_write_b128 v10, v[6:9] offset:9152
	ds_read_b128 v[0:3], v90 offset:1664
	ds_read_b128 v[4:7], v10 offset:8320
	global_load_dwordx4 v[15:18], v[23:24], off offset:3328
	s_waitcnt lgkmcnt(0)
	v_add_f64 v[8:9], v[0:1], v[4:5]
	v_add_f64 v[25:26], v[6:7], v[2:3]
	v_add_f64 v[27:28], v[0:1], -v[4:5]
	v_add_f64 v[0:1], v[2:3], -v[6:7]
	s_waitcnt vmcnt(2)
	v_fma_f64 v[2:3], v[27:28], v[13:14], v[8:9]
	v_fma_f64 v[4:5], v[25:26], v[13:14], v[0:1]
	v_fma_f64 v[6:7], -v[27:28], v[13:14], v[8:9]
	v_fma_f64 v[8:9], v[25:26], v[13:14], -v[0:1]
	v_fma_f64 v[0:1], -v[25:26], v[11:12], v[2:3]
	v_fma_f64 v[2:3], v[27:28], v[11:12], v[4:5]
	v_fma_f64 v[4:5], v[25:26], v[11:12], v[6:7]
	;; [unrolled: 1-line block ×3, first 2 shown]
	v_add_co_u32_e32 v8, vcc, s33, v23
	ds_write_b128 v90, v[0:3] offset:1664
	ds_write_b128 v10, v[4:7] offset:8320
	v_addc_co_u32_e32 v9, vcc, 0, v24, vcc
	ds_read_b128 v[0:3], v90 offset:2496
	ds_read_b128 v[4:7], v10 offset:7488
	global_load_dwordx4 v[11:14], v[8:9], off offset:64
	v_cmp_gt_u32_e32 vcc, 48, v52
	s_waitcnt lgkmcnt(0)
	v_add_f64 v[8:9], v[0:1], v[4:5]
	v_add_f64 v[23:24], v[6:7], v[2:3]
	v_add_f64 v[25:26], v[0:1], -v[4:5]
	v_add_f64 v[0:1], v[2:3], -v[6:7]
	s_waitcnt vmcnt(2)
	v_fma_f64 v[2:3], v[25:26], v[21:22], v[8:9]
	v_fma_f64 v[4:5], v[23:24], v[21:22], v[0:1]
	v_fma_f64 v[6:7], -v[25:26], v[21:22], v[8:9]
	v_fma_f64 v[8:9], v[23:24], v[21:22], -v[0:1]
	v_fma_f64 v[0:1], -v[23:24], v[19:20], v[2:3]
	v_fma_f64 v[2:3], v[25:26], v[19:20], v[4:5]
	v_fma_f64 v[4:5], v[23:24], v[19:20], v[6:7]
	;; [unrolled: 1-line block ×3, first 2 shown]
	ds_write_b128 v90, v[0:3] offset:2496
	ds_write_b128 v10, v[4:7] offset:7488
	ds_read_b128 v[0:3], v90 offset:3328
	ds_read_b128 v[4:7], v10 offset:6656
	s_waitcnt lgkmcnt(0)
	v_add_f64 v[8:9], v[0:1], v[4:5]
	v_add_f64 v[19:20], v[6:7], v[2:3]
	v_add_f64 v[21:22], v[0:1], -v[4:5]
	v_add_f64 v[0:1], v[2:3], -v[6:7]
	s_waitcnt vmcnt(1)
	v_fma_f64 v[2:3], v[21:22], v[17:18], v[8:9]
	v_fma_f64 v[4:5], v[19:20], v[17:18], v[0:1]
	v_fma_f64 v[6:7], -v[21:22], v[17:18], v[8:9]
	v_fma_f64 v[8:9], v[19:20], v[17:18], -v[0:1]
	v_fma_f64 v[0:1], -v[19:20], v[15:16], v[2:3]
	v_fma_f64 v[2:3], v[21:22], v[15:16], v[4:5]
	v_fma_f64 v[4:5], v[19:20], v[15:16], v[6:7]
	;; [unrolled: 1-line block ×3, first 2 shown]
	ds_write_b128 v90, v[0:3] offset:3328
	ds_write_b128 v10, v[4:7] offset:6656
	ds_read_b128 v[0:3], v90 offset:4160
	ds_read_b128 v[4:7], v10 offset:5824
	s_waitcnt lgkmcnt(0)
	v_add_f64 v[8:9], v[0:1], v[4:5]
	v_add_f64 v[15:16], v[6:7], v[2:3]
	v_add_f64 v[17:18], v[0:1], -v[4:5]
	v_add_f64 v[0:1], v[2:3], -v[6:7]
	s_waitcnt vmcnt(0)
	v_fma_f64 v[2:3], v[17:18], v[13:14], v[8:9]
	v_fma_f64 v[4:5], v[15:16], v[13:14], v[0:1]
	v_fma_f64 v[6:7], -v[17:18], v[13:14], v[8:9]
	v_fma_f64 v[8:9], v[15:16], v[13:14], -v[0:1]
	v_fma_f64 v[0:1], -v[15:16], v[11:12], v[2:3]
	v_fma_f64 v[2:3], v[17:18], v[11:12], v[4:5]
	v_fma_f64 v[4:5], v[15:16], v[11:12], v[6:7]
	;; [unrolled: 1-line block ×3, first 2 shown]
	ds_write_b128 v90, v[0:3] offset:4160
	ds_write_b128 v10, v[4:7] offset:5824
	s_waitcnt lgkmcnt(0)
	; wave barrier
	s_waitcnt lgkmcnt(0)
	s_waitcnt lgkmcnt(0)
	; wave barrier
	s_waitcnt lgkmcnt(0)
	ds_read_b128 v[0:3], v90
	ds_read_b128 v[32:35], v90 offset:768
	ds_read_b128 v[40:43], v90 offset:1536
	;; [unrolled: 1-line block ×12, first 2 shown]
	s_waitcnt lgkmcnt(0)
	; wave barrier
	s_waitcnt lgkmcnt(0)
	s_and_saveexec_b64 s[4:5], vcc
	s_cbranch_execz .LBB0_19
; %bb.18:
	v_add_f64 v[66:67], v[2:3], v[34:35]
	v_add_f64 v[68:69], v[0:1], v[32:33]
	v_add_f64 v[76:77], v[38:39], v[30:31]
	v_add_f64 v[74:75], v[38:39], -v[30:31]
	v_add_f64 v[62:63], v[4:5], -v[8:9]
	v_add_f64 v[60:61], v[4:5], v[8:9]
	s_mov_b32 s6, 0x93053d00
	s_mov_b32 s7, 0xbfef11f4
	v_add_f64 v[70:71], v[66:67], v[42:43]
	v_add_f64 v[78:79], v[68:69], v[40:41]
	v_add_f64 v[68:69], v[36:37], -v[28:29]
	v_add_f64 v[66:67], v[36:37], v[28:29]
	v_add_f64 v[82:83], v[46:47], v[26:27]
	v_add_f64 v[80:81], v[46:47], -v[26:27]
	s_mov_b32 s10, 0xe00740e9
	s_mov_b32 s12, 0x4bc48dbf
	v_add_f64 v[86:87], v[70:71], v[50:51]
	v_add_f64 v[88:89], v[78:79], v[48:49]
	s_mov_b32 s11, 0x3fec55a7
	s_mov_b32 s13, 0x3fcea1e5
	;; [unrolled: 1-line block ×4, first 2 shown]
	v_add_f64 v[72:73], v[44:45], -v[24:25]
	v_add_f64 v[70:71], v[44:45], v[24:25]
	v_add_f64 v[91:92], v[86:87], v[46:47]
	;; [unrolled: 1-line block ×5, first 2 shown]
	v_add_f64 v[86:87], v[32:33], -v[12:13]
	v_add_f64 v[34:35], v[34:35], -v[14:15]
	v_add_f64 v[84:85], v[50:51], v[22:23]
	v_add_f64 v[44:45], v[40:41], -v[16:17]
	v_add_f64 v[38:39], v[91:92], v[38:39]
	v_add_f64 v[36:37], v[93:94], v[36:37]
	v_add_f64 v[42:43], v[42:43], -v[18:19]
	v_add_f64 v[32:33], v[32:33], v[12:13]
	s_mov_b32 s14, 0x4267c47c
	s_mov_b32 s16, 0xd0032e0c
	;; [unrolled: 1-line block ×4, first 2 shown]
	v_add_f64 v[38:39], v[38:39], v[6:7]
	v_add_f64 v[4:5], v[36:37], v[4:5]
	s_mov_b32 s23, 0x3fddbe06
	s_mov_b32 s22, s14
	v_add_f64 v[78:79], v[48:49], -v[20:21]
	v_add_f64 v[50:51], v[50:51], -v[22:23]
	v_add_f64 v[40:41], v[40:41], v[16:17]
	v_mul_f64 v[91:92], v[84:85], s[16:17]
	v_add_f64 v[36:37], v[38:39], v[10:11]
	v_add_f64 v[4:5], v[4:5], v[8:9]
	v_mul_f64 v[8:9], v[88:89], s[6:7]
	s_mov_b32 s18, 0x24c2f84
	s_mov_b32 s24, 0x1ea71119
	;; [unrolled: 1-line block ×5, first 2 shown]
	v_add_f64 v[30:31], v[36:37], v[30:31]
	v_add_f64 v[4:5], v[4:5], v[28:29]
	v_mul_f64 v[28:29], v[34:35], s[20:21]
	v_mul_f64 v[36:37], v[46:47], s[10:11]
	v_fma_f64 v[38:39], v[86:87], s[12:13], v[8:9]
	s_mov_b32 s26, s18
	v_add_f64 v[48:49], v[48:49], v[20:21]
	v_mul_f64 v[95:96], v[50:51], s[26:27]
	v_add_f64 v[26:27], v[30:31], v[26:27]
	v_add_f64 v[4:5], v[4:5], v[24:25]
	v_mul_f64 v[24:25], v[42:43], s[22:23]
	v_fma_f64 v[30:31], v[32:33], s[6:7], v[28:29]
	v_fma_f64 v[93:94], v[44:45], s[14:15], v[36:37]
	v_add_f64 v[38:39], v[2:3], v[38:39]
	v_fma_f64 v[97:98], v[78:79], s[18:19], v[91:92]
	s_mov_b32 s42, 0x42a4c3d2
	v_add_f64 v[22:23], v[26:27], v[22:23]
	v_add_f64 v[4:5], v[4:5], v[20:21]
	v_mul_f64 v[26:27], v[82:83], s[24:25]
	v_fma_f64 v[20:21], v[40:41], s[10:11], v[24:25]
	v_add_f64 v[30:31], v[0:1], v[30:31]
	v_add_f64 v[38:39], v[93:94], v[38:39]
	s_mov_b32 s28, 0xb2365da1
	s_mov_b32 s43, 0xbfea55e2
	s_mov_b32 s35, 0x3fea55e2
	s_mov_b32 s34, s42
	s_mov_b32 s29, 0xbfd6b1d8
	v_add_f64 v[64:65], v[6:7], v[10:11]
	v_add_f64 v[18:19], v[22:23], v[18:19]
	v_add_f64 v[4:5], v[4:5], v[16:17]
	v_add_f64 v[16:17], v[20:21], v[30:31]
	v_fma_f64 v[20:21], v[48:49], s[16:17], v[95:96]
	v_mul_f64 v[22:23], v[80:81], s[34:35]
	v_fma_f64 v[30:31], v[72:73], s[42:43], v[26:27]
	v_add_f64 v[38:39], v[97:98], v[38:39]
	v_mul_f64 v[93:94], v[76:77], s[28:29]
	v_fma_f64 v[8:9], v[86:87], s[20:21], v[8:9]
	s_mov_b32 s30, 0x2ef20147
	s_mov_b32 s38, 0xebaa3ed8
	;; [unrolled: 1-line block ×6, first 2 shown]
	v_add_f64 v[16:17], v[20:21], v[16:17]
	v_fma_f64 v[97:98], v[70:71], s[24:25], v[22:23]
	v_mul_f64 v[99:100], v[74:75], s[36:37]
	v_add_f64 v[20:21], v[6:7], -v[10:11]
	v_add_f64 v[6:7], v[18:19], v[14:15]
	v_add_f64 v[4:5], v[4:5], v[12:13]
	;; [unrolled: 1-line block ×3, first 2 shown]
	v_fma_f64 v[12:13], v[68:69], s[30:31], v[93:94]
	v_fma_f64 v[18:19], v[44:45], s[22:23], v[36:37]
	v_fma_f64 v[28:29], v[32:33], s[6:7], -v[28:29]
	v_add_f64 v[8:9], v[2:3], v[8:9]
	v_mul_f64 v[30:31], v[64:65], s[38:39]
	s_mov_b32 s44, 0x66966769
	s_mov_b32 s45, 0xbfefc445
	;; [unrolled: 1-line block ×4, first 2 shown]
	v_add_f64 v[14:15], v[97:98], v[16:17]
	v_fma_f64 v[16:17], v[66:67], s[28:29], v[99:100]
	v_fma_f64 v[24:25], v[40:41], s[10:11], -v[24:25]
	v_add_f64 v[28:29], v[0:1], v[28:29]
	v_mul_f64 v[36:37], v[20:21], s[40:41]
	v_add_f64 v[8:9], v[18:19], v[8:9]
	v_fma_f64 v[18:19], v[78:79], s[26:27], v[91:92]
	v_add_f64 v[10:11], v[12:13], v[10:11]
	v_fma_f64 v[12:13], v[62:63], s[44:45], v[30:31]
	v_mul_f64 v[38:39], v[88:89], s[16:17]
	v_add_f64 v[14:15], v[16:17], v[14:15]
	v_add_f64 v[16:17], v[24:25], v[28:29]
	v_fma_f64 v[24:25], v[48:49], s[16:17], -v[95:96]
	v_fma_f64 v[28:29], v[60:61], s[38:39], v[36:37]
	v_add_f64 v[18:19], v[18:19], v[8:9]
	v_fma_f64 v[26:27], v[72:73], s[34:35], v[26:27]
	v_add_f64 v[10:11], v[12:13], v[10:11]
	v_fma_f64 v[12:13], v[86:87], s[18:19], v[38:39]
	v_mul_f64 v[91:92], v[46:47], s[38:39]
	v_mul_f64 v[95:96], v[34:35], s[26:27]
	v_add_f64 v[16:17], v[24:25], v[16:17]
	v_fma_f64 v[22:23], v[70:71], s[24:25], -v[22:23]
	v_add_f64 v[8:9], v[28:29], v[14:15]
	v_add_f64 v[14:15], v[26:27], v[18:19]
	v_fma_f64 v[18:19], v[68:69], s[36:37], v[93:94]
	v_add_f64 v[12:13], v[2:3], v[12:13]
	v_fma_f64 v[24:25], v[44:45], s[44:45], v[91:92]
	v_fma_f64 v[26:27], v[32:33], s[16:17], v[95:96]
	v_mul_f64 v[28:29], v[42:43], s[40:41]
	v_add_f64 v[16:17], v[22:23], v[16:17]
	v_mul_f64 v[22:23], v[84:85], s[24:25]
	v_fma_f64 v[93:94], v[66:67], s[28:29], -v[99:100]
	v_add_f64 v[14:15], v[18:19], v[14:15]
	v_fma_f64 v[18:19], v[62:63], s[40:41], v[30:31]
	v_add_f64 v[12:13], v[24:25], v[12:13]
	v_add_f64 v[24:25], v[0:1], v[26:27]
	v_fma_f64 v[26:27], v[40:41], s[38:39], v[28:29]
	v_mul_f64 v[30:31], v[50:51], s[42:43]
	v_fma_f64 v[97:98], v[78:79], s[34:35], v[22:23]
	v_add_f64 v[16:17], v[93:94], v[16:17]
	v_mul_f64 v[93:94], v[82:83], s[6:7]
	v_add_f64 v[14:15], v[18:19], v[14:15]
	v_fma_f64 v[36:37], v[60:61], s[38:39], -v[36:37]
	v_fma_f64 v[38:39], v[86:87], s[26:27], v[38:39]
	v_add_f64 v[18:19], v[26:27], v[24:25]
	v_fma_f64 v[24:25], v[48:49], s[24:25], v[30:31]
	v_add_f64 v[26:27], v[97:98], v[12:13]
	v_mul_f64 v[97:98], v[80:81], s[12:13]
	v_fma_f64 v[99:100], v[72:73], s[20:21], v[93:94]
	v_fma_f64 v[91:92], v[44:45], s[40:41], v[91:92]
	v_add_f64 v[12:13], v[36:37], v[16:17]
	v_add_f64 v[38:39], v[2:3], v[38:39]
	v_mul_f64 v[16:17], v[76:77], s[10:11]
	v_add_f64 v[18:19], v[24:25], v[18:19]
	v_fma_f64 v[24:25], v[32:33], s[16:17], -v[95:96]
	v_fma_f64 v[36:37], v[70:71], s[6:7], v[97:98]
	v_mul_f64 v[95:96], v[74:75], s[22:23]
	v_fma_f64 v[28:29], v[40:41], s[38:39], -v[28:29]
	v_add_f64 v[26:27], v[99:100], v[26:27]
	v_add_f64 v[38:39], v[91:92], v[38:39]
	v_fma_f64 v[22:23], v[78:79], s[42:43], v[22:23]
	v_fma_f64 v[91:92], v[68:69], s[14:15], v[16:17]
	v_add_f64 v[24:25], v[0:1], v[24:25]
	v_add_f64 v[18:19], v[36:37], v[18:19]
	v_fma_f64 v[36:37], v[66:67], s[10:11], v[95:96]
	v_mul_f64 v[99:100], v[64:65], s[28:29]
	v_mul_f64 v[101:102], v[20:21], s[36:37]
	;; [unrolled: 1-line block ×3, first 2 shown]
	v_add_f64 v[22:23], v[22:23], v[38:39]
	v_fma_f64 v[38:39], v[72:73], s[12:13], v[93:94]
	v_add_f64 v[24:25], v[28:29], v[24:25]
	v_fma_f64 v[28:29], v[48:49], s[24:25], -v[30:31]
	v_add_f64 v[26:27], v[91:92], v[26:27]
	v_add_f64 v[30:31], v[36:37], v[18:19]
	v_fma_f64 v[18:19], v[62:63], s[30:31], v[99:100]
	v_mul_f64 v[36:37], v[88:89], s[28:29]
	v_fma_f64 v[91:92], v[60:61], s[28:29], v[101:102]
	v_add_f64 v[22:23], v[38:39], v[22:23]
	v_fma_f64 v[38:39], v[68:69], s[22:23], v[16:17]
	v_add_f64 v[24:25], v[28:29], v[24:25]
	v_fma_f64 v[28:29], v[70:71], s[6:7], -v[97:98]
	v_mul_f64 v[93:94], v[34:35], s[36:37]
	v_add_f64 v[18:19], v[18:19], v[26:27]
	v_fma_f64 v[26:27], v[86:87], s[30:31], v[36:37]
	v_mul_f64 v[97:98], v[46:47], s[16:17]
	v_add_f64 v[16:17], v[91:92], v[30:31]
	v_add_f64 v[22:23], v[38:39], v[22:23]
	v_mul_f64 v[38:39], v[42:43], s[18:19]
	v_add_f64 v[24:25], v[28:29], v[24:25]
	v_fma_f64 v[28:29], v[66:67], s[10:11], -v[95:96]
	v_fma_f64 v[30:31], v[32:33], s[28:29], v[93:94]
	v_add_f64 v[26:27], v[2:3], v[26:27]
	v_fma_f64 v[91:92], v[44:45], s[26:27], v[97:98]
	v_mul_f64 v[95:96], v[84:85], s[10:11]
	v_fma_f64 v[99:100], v[62:63], s[36:37], v[99:100]
	v_fma_f64 v[101:102], v[60:61], s[28:29], -v[101:102]
	v_fma_f64 v[103:104], v[40:41], s[16:17], v[38:39]
	v_add_f64 v[28:29], v[28:29], v[24:25]
	v_add_f64 v[30:31], v[0:1], v[30:31]
	v_mul_f64 v[107:108], v[82:83], s[38:39]
	v_add_f64 v[26:27], v[91:92], v[26:27]
	v_fma_f64 v[91:92], v[78:79], s[14:15], v[95:96]
	v_add_f64 v[24:25], v[99:100], v[22:23]
	v_fma_f64 v[99:100], v[48:49], s[10:11], v[105:106]
	v_fma_f64 v[97:98], v[44:45], s[18:19], v[97:98]
	v_add_f64 v[22:23], v[101:102], v[28:29]
	v_fma_f64 v[28:29], v[86:87], s[36:37], v[36:37]
	v_add_f64 v[30:31], v[103:104], v[30:31]
	v_mul_f64 v[103:104], v[80:81], s[44:45]
	v_add_f64 v[26:27], v[91:92], v[26:27]
	v_fma_f64 v[36:37], v[72:73], s[40:41], v[107:108]
	v_fma_f64 v[91:92], v[32:33], s[28:29], -v[93:94]
	v_mul_f64 v[93:94], v[76:77], s[6:7]
	v_mul_f64 v[101:102], v[74:75], s[12:13]
	v_add_f64 v[28:29], v[2:3], v[28:29]
	v_add_f64 v[30:31], v[99:100], v[30:31]
	v_fma_f64 v[99:100], v[70:71], s[38:39], v[103:104]
	v_fma_f64 v[38:39], v[40:41], s[16:17], -v[38:39]
	v_add_f64 v[26:27], v[36:37], v[26:27]
	v_add_f64 v[91:92], v[0:1], v[91:92]
	v_fma_f64 v[36:37], v[68:69], s[20:21], v[93:94]
	v_mul_f64 v[109:110], v[64:65], s[24:25]
	v_add_f64 v[28:29], v[97:98], v[28:29]
	v_fma_f64 v[95:96], v[78:79], s[22:23], v[95:96]
	v_add_f64 v[30:31], v[99:100], v[30:31]
	v_fma_f64 v[97:98], v[66:67], s[6:7], v[101:102]
	v_mul_f64 v[99:100], v[88:89], s[38:39]
	v_add_f64 v[38:39], v[38:39], v[91:92]
	v_fma_f64 v[91:92], v[48:49], s[10:11], -v[105:106]
	v_add_f64 v[26:27], v[36:37], v[26:27]
	v_fma_f64 v[36:37], v[62:63], s[42:43], v[109:110]
	v_mul_f64 v[105:106], v[20:21], s[34:35]
	v_add_f64 v[95:96], v[95:96], v[28:29]
	v_fma_f64 v[107:108], v[72:73], s[44:45], v[107:108]
	v_add_f64 v[30:31], v[97:98], v[30:31]
	v_fma_f64 v[93:94], v[68:69], s[12:13], v[93:94]
	v_add_f64 v[38:39], v[91:92], v[38:39]
	v_fma_f64 v[91:92], v[70:71], s[38:39], -v[103:104]
	v_add_f64 v[28:29], v[36:37], v[26:27]
	v_fma_f64 v[26:27], v[86:87], s[40:41], v[99:100]
	v_mul_f64 v[36:37], v[46:47], s[6:7]
	v_fma_f64 v[97:98], v[60:61], s[24:25], v[105:106]
	v_add_f64 v[95:96], v[107:108], v[95:96]
	v_mul_f64 v[103:104], v[34:35], s[44:45]
	v_fma_f64 v[99:100], v[86:87], s[44:45], v[99:100]
	v_add_f64 v[38:39], v[91:92], v[38:39]
	v_fma_f64 v[91:92], v[66:67], s[6:7], -v[101:102]
	v_add_f64 v[101:102], v[2:3], v[26:27]
	v_fma_f64 v[107:108], v[44:45], s[12:13], v[36:37]
	v_add_f64 v[26:27], v[97:98], v[30:31]
	v_mul_f64 v[30:31], v[84:85], s[28:29]
	v_add_f64 v[93:94], v[93:94], v[95:96]
	v_fma_f64 v[95:96], v[32:33], s[38:39], v[103:104]
	v_mul_f64 v[97:98], v[42:43], s[20:21]
	v_fma_f64 v[103:104], v[32:33], s[38:39], -v[103:104]
	v_add_f64 v[91:92], v[91:92], v[38:39]
	v_fma_f64 v[38:39], v[62:63], s[34:35], v[109:110]
	v_add_f64 v[101:102], v[107:108], v[101:102]
	v_fma_f64 v[107:108], v[78:79], s[36:37], v[30:31]
	v_mul_f64 v[111:112], v[50:51], s[30:31]
	v_add_f64 v[95:96], v[0:1], v[95:96]
	v_fma_f64 v[109:110], v[40:41], s[6:7], v[97:98]
	v_fma_f64 v[36:37], v[44:45], s[20:21], v[36:37]
	v_add_f64 v[99:100], v[2:3], v[99:100]
	v_fma_f64 v[97:98], v[40:41], s[6:7], -v[97:98]
	v_add_f64 v[103:104], v[0:1], v[103:104]
	v_mul_f64 v[113:114], v[82:83], s[10:11]
	v_add_f64 v[101:102], v[107:108], v[101:102]
	v_fma_f64 v[107:108], v[48:49], s[28:29], v[111:112]
	v_add_f64 v[95:96], v[109:110], v[95:96]
	v_mul_f64 v[109:110], v[80:81], s[22:23]
	v_add_f64 v[36:37], v[36:37], v[99:100]
	v_fma_f64 v[30:31], v[78:79], s[30:31], v[30:31]
	v_add_f64 v[97:98], v[97:98], v[103:104]
	v_fma_f64 v[99:100], v[48:49], s[28:29], -v[111:112]
	v_fma_f64 v[115:116], v[72:73], s[14:15], v[113:114]
	v_mul_f64 v[103:104], v[76:77], s[24:25]
	v_add_f64 v[95:96], v[107:108], v[95:96]
	v_fma_f64 v[107:108], v[70:71], s[10:11], v[109:110]
	v_mul_f64 v[111:112], v[74:75], s[42:43]
	v_add_f64 v[30:31], v[30:31], v[36:37]
	v_fma_f64 v[36:37], v[72:73], s[22:23], v[113:114]
	v_add_f64 v[97:98], v[99:100], v[97:98]
	v_fma_f64 v[99:100], v[70:71], s[10:11], -v[109:110]
	v_add_f64 v[101:102], v[115:116], v[101:102]
	v_fma_f64 v[109:110], v[68:69], s[34:35], v[103:104]
	v_add_f64 v[95:96], v[107:108], v[95:96]
	v_fma_f64 v[107:108], v[66:67], s[24:25], v[111:112]
	v_mul_f64 v[113:114], v[64:65], s[16:17]
	v_mul_f64 v[115:116], v[20:21], s[26:27]
	v_add_f64 v[30:31], v[36:37], v[30:31]
	v_fma_f64 v[36:37], v[68:69], s[42:43], v[103:104]
	v_add_f64 v[97:98], v[99:100], v[97:98]
	v_fma_f64 v[99:100], v[66:67], s[24:25], -v[111:112]
	v_fma_f64 v[103:104], v[60:61], s[24:25], -v[105:106]
	v_add_f64 v[38:39], v[38:39], v[93:94]
	v_add_f64 v[93:94], v[109:110], v[101:102]
	;; [unrolled: 1-line block ×3, first 2 shown]
	v_fma_f64 v[105:106], v[60:61], s[16:17], v[115:116]
	v_add_f64 v[30:31], v[36:37], v[30:31]
	v_fma_f64 v[107:108], v[60:61], s[16:17], -v[115:116]
	v_add_f64 v[99:100], v[99:100], v[97:98]
	v_fma_f64 v[97:98], v[62:63], s[26:27], v[113:114]
	v_mul_f64 v[109:110], v[88:89], s[24:25]
	v_fma_f64 v[101:102], v[62:63], s[18:19], v[113:114]
	v_add_f64 v[36:37], v[103:104], v[91:92]
	v_mul_f64 v[88:89], v[88:89], s[10:11]
	v_add_f64 v[91:92], v[105:106], v[95:96]
	v_mul_f64 v[111:112], v[84:85], s[6:7]
	v_add_f64 v[95:96], v[107:108], v[99:100]
	v_add_f64 v[97:98], v[97:98], v[30:31]
	v_fma_f64 v[30:31], v[86:87], s[34:35], v[109:110]
	v_mul_f64 v[99:100], v[46:47], s[28:29]
	v_add_f64 v[93:94], v[101:102], v[93:94]
	v_mul_f64 v[101:102], v[34:35], s[42:43]
	v_fma_f64 v[103:104], v[86:87], s[42:43], v[109:110]
	v_fma_f64 v[105:106], v[86:87], s[22:23], v[88:89]
	;; [unrolled: 1-line block ×3, first 2 shown]
	v_mul_f64 v[34:35], v[34:35], s[14:15]
	v_add_f64 v[30:31], v[2:3], v[30:31]
	v_fma_f64 v[88:89], v[44:45], s[30:31], v[99:100]
	v_mul_f64 v[109:110], v[42:43], s[36:37]
	v_fma_f64 v[107:108], v[32:33], s[24:25], v[101:102]
	v_fma_f64 v[101:102], v[32:33], s[24:25], -v[101:102]
	v_mul_f64 v[121:122], v[76:77], s[38:39]
	v_mul_f64 v[115:116], v[50:51], s[20:21]
	v_fma_f64 v[117:118], v[32:33], s[10:11], v[34:35]
	v_fma_f64 v[32:33], v[32:33], s[10:11], -v[34:35]
	v_add_f64 v[30:31], v[88:89], v[30:31]
	v_fma_f64 v[34:35], v[78:79], s[12:13], v[111:112]
	v_mul_f64 v[88:89], v[82:83], s[16:17]
	v_add_f64 v[107:108], v[0:1], v[107:108]
	v_add_f64 v[103:104], v[2:3], v[103:104]
	;; [unrolled: 1-line block ×4, first 2 shown]
	v_fma_f64 v[99:100], v[44:45], s[36:37], v[99:100]
	v_add_f64 v[0:1], v[0:1], v[32:33]
	v_add_f64 v[30:31], v[34:35], v[30:31]
	v_fma_f64 v[34:35], v[72:73], s[26:27], v[88:89]
	v_fma_f64 v[32:33], v[40:41], s[28:29], -v[109:110]
	v_mul_f64 v[46:47], v[46:47], s[24:25]
	v_add_f64 v[105:106], v[2:3], v[105:106]
	v_add_f64 v[2:3], v[2:3], v[86:87]
	;; [unrolled: 1-line block ×3, first 2 shown]
	v_fma_f64 v[103:104], v[78:79], s[20:21], v[111:112]
	v_mul_f64 v[84:85], v[84:85], s[38:39]
	v_add_f64 v[30:31], v[34:35], v[30:31]
	v_fma_f64 v[34:35], v[68:69], s[44:45], v[121:122]
	v_add_f64 v[32:33], v[32:33], v[101:102]
	v_fma_f64 v[101:102], v[44:45], s[42:43], v[46:47]
	v_mul_f64 v[119:120], v[80:81], s[18:19]
	v_fma_f64 v[88:89], v[72:73], s[18:19], v[88:89]
	v_add_f64 v[99:100], v[103:104], v[99:100]
	v_mul_f64 v[50:51], v[50:51], s[44:45]
	v_mul_f64 v[82:83], v[82:83], s[28:29]
	v_add_f64 v[30:31], v[34:35], v[30:31]
	v_mul_f64 v[34:35], v[42:43], s[42:43]
	v_fma_f64 v[42:43], v[48:49], s[6:7], -v[115:116]
	v_add_f64 v[2:3], v[101:102], v[2:3]
	v_fma_f64 v[113:114], v[40:41], s[28:29], v[109:110]
	v_mul_f64 v[86:87], v[74:75], s[40:41]
	v_fma_f64 v[101:102], v[70:71], s[16:17], -v[119:120]
	v_add_f64 v[88:89], v[88:89], v[99:100]
	v_fma_f64 v[99:100], v[48:49], s[38:39], -v[50:51]
	v_fma_f64 v[103:104], v[40:41], s[24:25], -v[34:35]
	v_add_f64 v[32:33], v[42:43], v[32:33]
	v_fma_f64 v[42:43], v[78:79], s[44:45], v[84:85]
	v_mul_f64 v[80:81], v[80:81], s[36:37]
	v_mul_f64 v[76:77], v[76:77], s[16:17]
	v_fma_f64 v[44:45], v[44:45], s[34:35], v[46:47]
	v_fma_f64 v[34:35], v[40:41], s[24:25], v[34:35]
	v_add_f64 v[107:108], v[113:114], v[107:108]
	v_add_f64 v[0:1], v[103:104], v[0:1]
	v_fma_f64 v[113:114], v[48:49], s[6:7], v[115:116]
	v_add_f64 v[2:3], v[42:43], v[2:3]
	v_fma_f64 v[42:43], v[72:73], s[36:37], v[82:83]
	v_fma_f64 v[109:110], v[66:67], s[38:39], v[86:87]
	v_add_f64 v[32:33], v[101:102], v[32:33]
	v_fma_f64 v[46:47], v[70:71], s[28:29], -v[80:81]
	v_mul_f64 v[74:75], v[74:75], s[26:27]
	v_add_f64 v[0:1], v[99:100], v[0:1]
	v_fma_f64 v[86:87], v[66:67], s[38:39], -v[86:87]
	v_fma_f64 v[40:41], v[68:69], s[26:27], v[76:77]
	v_add_f64 v[2:3], v[42:43], v[2:3]
	v_fma_f64 v[42:43], v[78:79], s[40:41], v[84:85]
	v_add_f64 v[44:45], v[44:45], v[105:106]
	;; [unrolled: 2-line block ×3, first 2 shown]
	v_add_f64 v[107:108], v[113:114], v[107:108]
	v_fma_f64 v[113:114], v[70:71], s[16:17], v[119:120]
	v_add_f64 v[0:1], v[46:47], v[0:1]
	v_fma_f64 v[46:47], v[66:67], s[16:17], -v[74:75]
	v_add_f64 v[50:51], v[86:87], v[32:33]
	v_fma_f64 v[32:33], v[72:73], s[30:31], v[82:83]
	v_add_f64 v[42:43], v[42:43], v[44:45]
	v_add_f64 v[40:41], v[40:41], v[2:3]
	v_fma_f64 v[2:3], v[70:71], s[28:29], v[80:81]
	v_add_f64 v[34:35], v[48:49], v[34:35]
	v_mul_f64 v[44:45], v[64:65], s[10:11]
	v_mul_f64 v[48:49], v[64:65], s[6:7]
	;; [unrolled: 1-line block ×3, first 2 shown]
	v_fma_f64 v[103:104], v[68:69], s[40:41], v[121:122]
	v_mul_f64 v[20:21], v[20:21], s[22:23]
	v_add_f64 v[107:108], v[113:114], v[107:108]
	v_add_f64 v[0:1], v[46:47], v[0:1]
	v_fma_f64 v[46:47], v[68:69], s[18:19], v[76:77]
	v_add_f64 v[32:33], v[32:33], v[42:43]
	v_fma_f64 v[42:43], v[66:67], s[16:17], v[74:75]
	;; [unrolled: 2-line block ×3, first 2 shown]
	v_fma_f64 v[44:45], v[62:63], s[22:23], v[44:45]
	v_fma_f64 v[34:35], v[62:63], s[20:21], v[48:49]
	v_fma_f64 v[48:49], v[62:63], s[12:13], v[48:49]
	v_fma_f64 v[62:63], v[60:61], s[6:7], -v[64:65]
	v_add_f64 v[78:79], v[103:104], v[88:89]
	v_fma_f64 v[68:69], v[60:61], s[10:11], -v[20:21]
	v_add_f64 v[107:108], v[109:110], v[107:108]
	v_fma_f64 v[20:21], v[60:61], s[10:11], v[20:21]
	v_add_f64 v[46:47], v[46:47], v[32:33]
	v_fma_f64 v[60:61], v[60:61], s[6:7], v[64:65]
	v_add_f64 v[64:65], v[42:43], v[2:3]
	v_add_f64 v[42:43], v[34:35], v[40:41]
	v_add_f64 v[40:41], v[62:63], v[0:1]
	v_add_f64 v[2:3], v[66:67], v[30:31]
	v_add_f64 v[32:33], v[44:45], v[78:79]
	v_add_f64 v[30:31], v[68:69], v[50:51]
	s_movk_i32 s6, 0xc0
	v_add_f64 v[0:1], v[20:21], v[107:108]
	v_mad_u32_u24 v20, v52, s6, v90
	v_add_f64 v[46:47], v[48:49], v[46:47]
	v_add_f64 v[44:45], v[60:61], v[64:65]
	ds_write_b128 v20, v[4:7]
	ds_write_b128 v20, v[40:43] offset:16
	ds_write_b128 v20, v[30:33] offset:32
	;; [unrolled: 1-line block ×12, first 2 shown]
.LBB0_19:
	s_or_b64 exec, exec, s[4:5]
	s_movk_i32 s4, 0x4f
	v_mul_lo_u16_sdwa v0, v52, s4 dst_sel:DWORD dst_unused:UNUSED_PAD src0_sel:BYTE_0 src1_sel:DWORD
	v_add_u16_e32 v8, 52, v52
	v_lshrrev_b16_e32 v53, 10, v0
	v_mul_lo_u16_sdwa v9, v8, s4 dst_sel:DWORD dst_unused:UNUSED_PAD src0_sel:BYTE_0 src1_sel:DWORD
	v_mul_lo_u16_e32 v0, 13, v53
	v_lshrrev_b16_e32 v107, 10, v9
	v_sub_u16_e32 v88, v52, v0
	v_mov_b32_e32 v24, 3
	v_mul_lo_u16_e32 v9, 13, v107
	v_mul_u32_u24_sdwa v0, v88, v24 dst_sel:DWORD dst_unused:UNUSED_PAD src0_sel:BYTE_0 src1_sel:DWORD
	v_sub_u16_e32 v108, v8, v9
	v_lshlrev_b32_e32 v25, 4, v0
	v_mul_u32_u24_sdwa v8, v108, v24 dst_sel:DWORD dst_unused:UNUSED_PAD src0_sel:BYTE_0 src1_sel:DWORD
	s_waitcnt lgkmcnt(0)
	; wave barrier
	s_waitcnt lgkmcnt(0)
	global_load_dwordx4 v[0:3], v25, s[8:9] offset:16
	global_load_dwordx4 v[4:7], v25, s[8:9]
	v_lshlrev_b32_e32 v26, 4, v8
	global_load_dwordx4 v[8:11], v26, s[8:9] offset:32
	global_load_dwordx4 v[12:15], v26, s[8:9] offset:16
	;; [unrolled: 1-line block ×3, first 2 shown]
	global_load_dwordx4 v[20:23], v26, s[8:9]
	v_add_u16_e32 v25, 0x68, v52
	v_mul_lo_u16_sdwa v26, v25, s4 dst_sel:DWORD dst_unused:UNUSED_PAD src0_sel:BYTE_0 src1_sel:DWORD
	v_lshrrev_b16_e32 v109, 10, v26
	v_mul_lo_u16_e32 v26, 13, v109
	v_sub_u16_e32 v110, v25, v26
	v_mul_u32_u24_sdwa v24, v110, v24 dst_sel:DWORD dst_unused:UNUSED_PAD src0_sel:BYTE_0 src1_sel:DWORD
	v_lshlrev_b32_e32 v36, 4, v24
	global_load_dwordx4 v[24:27], v36, s[8:9]
	global_load_dwordx4 v[28:31], v36, s[8:9] offset:16
	global_load_dwordx4 v[32:35], v36, s[8:9] offset:32
	v_mov_b32_e32 v111, 4
	v_mul_u32_u24_e32 v53, 0x340, v53
	v_lshlrev_b32_sdwa v88, v111, v88 dst_sel:DWORD dst_unused:UNUSED_PAD src0_sel:DWORD src1_sel:BYTE_0
	ds_read_b128 v[36:39], v90
	ds_read_b128 v[40:43], v90 offset:832
	ds_read_b128 v[44:47], v90 offset:4992
	;; [unrolled: 1-line block ×11, first 2 shown]
	v_add3_u32 v53, 0, v53, v88
	s_waitcnt lgkmcnt(0)
	; wave barrier
	s_waitcnt lgkmcnt(0)
	s_mov_b32 s4, 0xe8584caa
	s_mov_b32 s5, 0x3febb67a
	;; [unrolled: 1-line block ×4, first 2 shown]
	s_waitcnt vmcnt(6)
	v_mul_f64 v[103:104], v[86:87], v[10:11]
	v_mul_f64 v[88:89], v[62:63], v[6:7]
	;; [unrolled: 1-line block ×5, first 2 shown]
	s_waitcnt vmcnt(4)
	v_mul_f64 v[97:98], v[78:79], v[18:19]
	v_mul_f64 v[18:19], v[76:77], v[18:19]
	s_waitcnt vmcnt(3)
	v_mul_f64 v[99:100], v[70:71], v[22:23]
	v_mul_f64 v[22:23], v[68:69], v[22:23]
	v_mul_f64 v[101:102], v[50:51], v[14:15]
	v_mul_f64 v[14:15], v[48:49], v[14:15]
	v_mul_f64 v[10:11], v[84:85], v[10:11]
	s_waitcnt vmcnt(2)
	v_mul_f64 v[105:106], v[74:75], v[26:27]
	v_fma_f64 v[60:61], v[60:61], v[4:5], -v[88:89]
	v_fma_f64 v[4:5], v[62:63], v[4:5], v[6:7]
	v_mul_f64 v[6:7], v[72:73], v[26:27]
	s_waitcnt vmcnt(1)
	v_mul_f64 v[26:27], v[82:83], v[30:31]
	v_mul_f64 v[30:31], v[80:81], v[30:31]
	s_waitcnt vmcnt(0)
	v_mul_f64 v[62:63], v[93:94], v[34:35]
	v_fma_f64 v[44:45], v[44:45], v[0:1], -v[95:96]
	v_fma_f64 v[0:1], v[46:47], v[0:1], v[2:3]
	v_mul_f64 v[2:3], v[91:92], v[34:35]
	v_fma_f64 v[34:35], v[76:77], v[16:17], -v[97:98]
	v_fma_f64 v[16:17], v[78:79], v[16:17], v[18:19]
	v_fma_f64 v[18:19], v[68:69], v[20:21], -v[99:100]
	v_fma_f64 v[20:21], v[70:71], v[20:21], v[22:23]
	;; [unrolled: 2-line block ×7, first 2 shown]
	v_add_f64 v[30:31], v[36:37], -v[44:45]
	v_add_f64 v[32:33], v[38:39], -v[0:1]
	;; [unrolled: 1-line block ×12, first 2 shown]
	v_fma_f64 v[26:27], v[36:37], 2.0, -v[30:31]
	v_fma_f64 v[36:37], v[38:39], 2.0, -v[32:33]
	;; [unrolled: 1-line block ×4, first 2 shown]
	v_add_f64 v[2:3], v[32:33], v[34:35]
	v_fma_f64 v[40:41], v[40:41], 2.0, -v[44:45]
	v_fma_f64 v[42:43], v[42:43], 2.0, -v[46:47]
	;; [unrolled: 1-line block ×4, first 2 shown]
	v_add_f64 v[0:1], v[30:31], -v[0:1]
	v_fma_f64 v[60:61], v[64:65], 2.0, -v[48:49]
	v_fma_f64 v[62:63], v[66:67], 2.0, -v[50:51]
	;; [unrolled: 1-line block ×4, first 2 shown]
	v_add_f64 v[6:7], v[46:47], v[12:13]
	v_add_f64 v[10:11], v[50:51], v[14:15]
	v_add_f64 v[12:13], v[26:27], -v[22:23]
	v_add_f64 v[14:15], v[36:37], -v[28:29]
	;; [unrolled: 1-line block ×6, first 2 shown]
	v_fma_f64 v[16:17], v[30:31], 2.0, -v[0:1]
	v_add_f64 v[28:29], v[60:61], -v[64:65]
	v_add_f64 v[30:31], v[62:63], -v[66:67]
	v_fma_f64 v[18:19], v[32:33], 2.0, -v[2:3]
	v_fma_f64 v[32:33], v[26:27], 2.0, -v[12:13]
	;; [unrolled: 1-line block ×11, first 2 shown]
	ds_write_b128 v53, v[32:35]
	ds_write_b128 v53, v[16:19] offset:208
	ds_write_b128 v53, v[12:15] offset:416
	;; [unrolled: 1-line block ×3, first 2 shown]
	v_mul_u32_u24_e32 v0, 0x340, v107
	v_lshlrev_b32_sdwa v1, v111, v108 dst_sel:DWORD dst_unused:UNUSED_PAD src0_sel:DWORD src1_sel:BYTE_0
	v_add3_u32 v0, 0, v0, v1
	ds_write_b128 v0, v[40:43]
	ds_write_b128 v0, v[24:27] offset:208
	ds_write_b128 v0, v[20:23] offset:416
	;; [unrolled: 1-line block ×3, first 2 shown]
	v_mul_u32_u24_e32 v0, 0x340, v109
	v_lshlrev_b32_sdwa v1, v111, v110 dst_sel:DWORD dst_unused:UNUSED_PAD src0_sel:DWORD src1_sel:BYTE_0
	v_add3_u32 v0, 0, v0, v1
	ds_write_b128 v0, v[44:47]
	ds_write_b128 v0, v[36:39] offset:208
	ds_write_b128 v0, v[28:31] offset:416
	;; [unrolled: 1-line block ×3, first 2 shown]
	v_mul_u32_u24_e32 v0, 5, v52
	v_lshlrev_b32_e32 v20, 4, v0
	s_waitcnt lgkmcnt(0)
	; wave barrier
	s_waitcnt lgkmcnt(0)
	global_load_dwordx4 v[0:3], v20, s[8:9] offset:624
	global_load_dwordx4 v[4:7], v20, s[8:9] offset:640
	;; [unrolled: 1-line block ×5, first 2 shown]
	ds_read_b128 v[20:23], v90
	ds_read_b128 v[24:27], v90 offset:832
	ds_read_b128 v[28:31], v90 offset:1664
	ds_read_b128 v[32:35], v90 offset:2496
	ds_read_b128 v[36:39], v90 offset:3328
	ds_read_b128 v[40:43], v90 offset:4160
	ds_read_b128 v[44:47], v90 offset:4992
	ds_read_b128 v[48:51], v90 offset:5824
	ds_read_b128 v[60:63], v90 offset:6656
	ds_read_b128 v[64:67], v90 offset:7488
	ds_read_b128 v[68:71], v90 offset:8320
	ds_read_b128 v[72:75], v90 offset:9152
	s_waitcnt lgkmcnt(0)
	; wave barrier
	s_waitcnt vmcnt(4) lgkmcnt(0)
	v_mul_f64 v[76:77], v[30:31], v[2:3]
	v_mul_f64 v[78:79], v[28:29], v[2:3]
	s_waitcnt vmcnt(2)
	v_mul_f64 v[86:87], v[44:45], v[10:11]
	v_mul_f64 v[80:81], v[38:39], v[6:7]
	s_waitcnt vmcnt(0)
	v_mul_f64 v[95:96], v[68:69], v[18:19]
	v_mul_f64 v[82:83], v[36:37], v[6:7]
	;; [unrolled: 1-line block ×8, first 2 shown]
	v_fma_f64 v[46:47], v[46:47], v[8:9], v[86:87]
	v_fma_f64 v[70:71], v[70:71], v[16:17], v[95:96]
	v_mul_f64 v[97:98], v[34:35], v[2:3]
	v_mul_f64 v[2:3], v[32:33], v[2:3]
	;; [unrolled: 1-line block ×6, first 2 shown]
	v_fma_f64 v[28:29], v[28:29], v[0:1], -v[76:77]
	v_fma_f64 v[30:31], v[30:31], v[0:1], v[78:79]
	v_fma_f64 v[36:37], v[36:37], v[4:5], -v[80:81]
	v_fma_f64 v[38:39], v[38:39], v[4:5], v[82:83]
	v_fma_f64 v[44:45], v[44:45], v[8:9], -v[84:85]
	v_fma_f64 v[60:61], v[60:61], v[12:13], -v[88:89]
	v_fma_f64 v[62:63], v[62:63], v[12:13], v[91:92]
	v_fma_f64 v[68:69], v[68:69], v[16:17], -v[93:94]
	v_fma_f64 v[72:73], v[72:73], v[16:17], -v[105:106]
	v_fma_f64 v[18:19], v[74:75], v[16:17], v[18:19]
	v_add_f64 v[16:17], v[46:47], v[70:71]
	v_mul_f64 v[99:100], v[42:43], v[6:7]
	v_mul_f64 v[6:7], v[40:41], v[6:7]
	v_fma_f64 v[32:33], v[32:33], v[0:1], -v[97:98]
	v_fma_f64 v[34:35], v[34:35], v[0:1], v[2:3]
	v_fma_f64 v[48:49], v[48:49], v[8:9], -v[101:102]
	v_fma_f64 v[50:51], v[50:51], v[8:9], v[10:11]
	;; [unrolled: 2-line block ×3, first 2 shown]
	v_add_f64 v[0:1], v[20:21], v[36:37]
	v_add_f64 v[2:3], v[36:37], v[60:61]
	;; [unrolled: 1-line block ×5, first 2 shown]
	v_add_f64 v[44:45], v[44:45], -v[68:69]
	v_fma_f64 v[16:17], v[16:17], -0.5, v[30:31]
	v_fma_f64 v[40:41], v[40:41], v[4:5], -v[99:100]
	v_fma_f64 v[42:43], v[42:43], v[4:5], v[6:7]
	v_add_f64 v[4:5], v[38:39], -v[62:63]
	v_add_f64 v[6:7], v[22:23], v[38:39]
	v_add_f64 v[10:11], v[36:37], -v[60:61]
	v_add_f64 v[36:37], v[46:47], -v[70:71]
	v_add_f64 v[38:39], v[30:31], v[46:47]
	v_fma_f64 v[14:15], v[14:15], -0.5, v[28:29]
	v_add_f64 v[60:61], v[0:1], v[60:61]
	v_fma_f64 v[0:1], v[2:3], -0.5, v[20:21]
	v_fma_f64 v[2:3], v[8:9], -0.5, v[22:23]
	v_fma_f64 v[8:9], v[44:45], s[6:7], v[16:17]
	v_add_f64 v[74:75], v[40:41], v[64:65]
	v_add_f64 v[78:79], v[48:49], v[72:73]
	;; [unrolled: 1-line block ×3, first 2 shown]
	v_fma_f64 v[20:21], v[36:37], s[6:7], v[14:15]
	v_fma_f64 v[14:15], v[36:37], s[4:5], v[14:15]
	v_add_f64 v[28:29], v[50:51], v[18:19]
	v_add_f64 v[6:7], v[6:7], v[62:63]
	v_mul_f64 v[38:39], v[8:9], s[4:5]
	v_fma_f64 v[16:17], v[44:45], s[4:5], v[16:17]
	v_fma_f64 v[70:71], v[4:5], s[4:5], v[0:1]
	v_add_f64 v[46:47], v[24:25], v[40:41]
	v_mul_f64 v[44:45], v[20:21], -0.5
	v_mul_f64 v[62:63], v[14:15], s[6:7]
	v_add_f64 v[76:77], v[42:43], -v[66:67]
	v_add_f64 v[30:31], v[48:49], -v[72:73]
	v_fma_f64 v[38:39], v[14:15], 0.5, v[38:39]
	v_add_f64 v[12:13], v[12:13], v[68:69]
	v_fma_f64 v[24:25], v[74:75], -0.5, v[24:25]
	v_fma_f64 v[36:37], v[78:79], -0.5, v[32:33]
	v_mul_f64 v[68:69], v[16:17], -0.5
	v_fma_f64 v[74:75], v[4:5], s[6:7], v[0:1]
	v_fma_f64 v[44:45], v[16:17], s[4:5], v[44:45]
	v_fma_f64 v[62:63], v[8:9], 0.5, v[62:63]
	v_fma_f64 v[28:29], v[28:29], -0.5, v[34:35]
	v_add_f64 v[8:9], v[70:71], v[38:39]
	v_add_f64 v[16:17], v[70:71], -v[38:39]
	v_add_f64 v[38:39], v[50:51], -v[18:19]
	v_fma_f64 v[78:79], v[10:11], s[6:7], v[2:3]
	v_fma_f64 v[80:81], v[10:11], s[4:5], v[2:3]
	v_add_f64 v[2:3], v[6:7], v[22:23]
	v_add_f64 v[6:7], v[6:7], -v[22:23]
	v_add_f64 v[22:23], v[26:27], v[42:43]
	v_fma_f64 v[68:69], v[20:21], s[6:7], v[68:69]
	v_add_f64 v[0:1], v[60:61], v[12:13]
	v_add_f64 v[4:5], v[60:61], -v[12:13]
	v_add_f64 v[12:13], v[74:75], v[44:45]
	v_add_f64 v[20:21], v[74:75], -v[44:45]
	v_add_f64 v[44:45], v[42:43], v[66:67]
	v_fma_f64 v[60:61], v[76:77], s[4:5], v[24:25]
	v_fma_f64 v[42:43], v[76:77], s[6:7], v[24:25]
	;; [unrolled: 1-line block ×6, first 2 shown]
	v_add_f64 v[38:39], v[22:23], v[66:67]
	v_add_f64 v[22:23], v[32:33], v[48:49]
	;; [unrolled: 1-line block ×3, first 2 shown]
	v_fma_f64 v[26:27], v[44:45], -0.5, v[26:27]
	v_add_f64 v[30:31], v[40:41], -v[64:65]
	v_mul_f64 v[32:33], v[24:25], s[4:5]
	v_mul_f64 v[44:45], v[36:37], s[6:7]
	v_mul_f64 v[40:41], v[70:71], -0.5
	v_mul_f64 v[48:49], v[28:29], -0.5
	v_add_f64 v[46:47], v[46:47], v[64:65]
	v_add_f64 v[66:67], v[22:23], v[72:73]
	;; [unrolled: 1-line block ×3, first 2 shown]
	v_fma_f64 v[50:51], v[30:31], s[6:7], v[26:27]
	v_fma_f64 v[72:73], v[36:37], 0.5, v[32:33]
	v_fma_f64 v[82:83], v[24:25], 0.5, v[44:45]
	v_fma_f64 v[64:65], v[30:31], s[4:5], v[26:27]
	v_fma_f64 v[74:75], v[28:29], s[4:5], v[40:41]
	;; [unrolled: 1-line block ×3, first 2 shown]
	v_add_f64 v[10:11], v[78:79], v[62:63]
	v_add_f64 v[14:15], v[80:81], v[68:69]
	v_add_f64 v[18:19], v[78:79], -v[62:63]
	v_add_f64 v[22:23], v[80:81], -v[68:69]
	v_add_f64 v[24:25], v[46:47], v[66:67]
	v_add_f64 v[26:27], v[38:39], v[76:77]
	;; [unrolled: 1-line block ×6, first 2 shown]
	v_add_f64 v[36:37], v[46:47], -v[66:67]
	v_add_f64 v[40:41], v[60:61], -v[72:73]
	;; [unrolled: 1-line block ×6, first 2 shown]
	ds_write_b128 v90, v[0:3]
	ds_write_b128 v90, v[8:11] offset:832
	ds_write_b128 v90, v[12:15] offset:1664
	;; [unrolled: 1-line block ×11, first 2 shown]
	v_mov_b32_e32 v4, s9
	v_add_co_u32_e32 v0, vcc, s8, v56
	v_addc_co_u32_e32 v1, vcc, v4, v57, vcc
	v_add_co_u32_e32 v0, vcc, s33, v0
	v_addc_co_u32_e32 v1, vcc, 0, v1, vcc
	;; [unrolled: 2-line block ×3, first 2 shown]
	v_add_co_u32_e32 v20, vcc, s33, v22
	s_waitcnt lgkmcnt(0)
	; wave barrier
	s_waitcnt lgkmcnt(0)
	global_load_dwordx4 v[0:3], v[0:1], off offset:688
	v_addc_co_u32_e32 v21, vcc, 0, v23, vcc
	global_load_dwordx4 v[4:7], v[20:21], off offset:1520
	global_load_dwordx4 v[8:11], v[20:21], off offset:2352
	;; [unrolled: 1-line block ×4, first 2 shown]
	s_movk_i32 s4, 0x2000
	v_add_co_u32_e32 v20, vcc, s4, v22
	v_addc_co_u32_e32 v21, vcc, 0, v23, vcc
	global_load_dwordx4 v[20:23], v[20:21], off offset:752
	ds_read_b128 v[24:27], v90
	ds_read_b128 v[28:31], v90 offset:832
	ds_read_b128 v[32:35], v90 offset:4992
	;; [unrolled: 1-line block ×11, first 2 shown]
	s_waitcnt lgkmcnt(0)
	; wave barrier
	s_waitcnt vmcnt(5) lgkmcnt(0)
	v_mul_f64 v[76:77], v[34:35], v[2:3]
	v_mul_f64 v[2:3], v[32:33], v[2:3]
	s_waitcnt vmcnt(4)
	v_mul_f64 v[78:79], v[38:39], v[6:7]
	v_mul_f64 v[6:7], v[36:37], v[6:7]
	s_waitcnt vmcnt(3)
	;; [unrolled: 3-line block ×3, first 2 shown]
	v_mul_f64 v[82:83], v[58:59], v[14:15]
	v_mul_f64 v[14:15], v[56:57], v[14:15]
	v_fma_f64 v[32:33], v[32:33], v[0:1], -v[76:77]
	v_fma_f64 v[2:3], v[34:35], v[0:1], v[2:3]
	v_fma_f64 v[34:35], v[36:37], v[4:5], -v[78:79]
	v_fma_f64 v[6:7], v[38:39], v[4:5], v[6:7]
	;; [unrolled: 2-line block ×4, first 2 shown]
	s_waitcnt vmcnt(1)
	v_mul_f64 v[8:9], v[70:71], v[18:19]
	v_mul_f64 v[10:11], v[68:69], v[18:19]
	s_waitcnt vmcnt(0)
	v_mul_f64 v[12:13], v[74:75], v[22:23]
	v_mul_f64 v[14:15], v[72:73], v[22:23]
	v_add_f64 v[0:1], v[24:25], -v[32:33]
	v_add_f64 v[2:3], v[26:27], -v[2:3]
	;; [unrolled: 1-line block ×4, first 2 shown]
	v_fma_f64 v[32:33], v[68:69], v[16:17], -v[8:9]
	v_fma_f64 v[34:35], v[70:71], v[16:17], v[10:11]
	v_fma_f64 v[56:57], v[72:73], v[20:21], -v[12:13]
	v_fma_f64 v[58:59], v[74:75], v[20:21], v[14:15]
	v_add_f64 v[16:17], v[40:41], -v[36:37]
	v_add_f64 v[18:19], v[42:43], -v[38:39]
	;; [unrolled: 1-line block ×4, first 2 shown]
	v_fma_f64 v[8:9], v[24:25], 2.0, -v[0:1]
	v_fma_f64 v[10:11], v[26:27], 2.0, -v[2:3]
	;; [unrolled: 1-line block ×4, first 2 shown]
	v_add_f64 v[24:25], v[60:61], -v[32:33]
	v_add_f64 v[26:27], v[62:63], -v[34:35]
	;; [unrolled: 1-line block ×4, first 2 shown]
	v_fma_f64 v[32:33], v[40:41], 2.0, -v[16:17]
	v_fma_f64 v[34:35], v[42:43], 2.0, -v[18:19]
	;; [unrolled: 1-line block ×8, first 2 shown]
	ds_write_b128 v90, v[8:11]
	ds_write_b128 v90, v[0:3] offset:4992
	ds_write_b128 v90, v[12:15] offset:832
	;; [unrolled: 1-line block ×11, first 2 shown]
	s_waitcnt lgkmcnt(0)
	; wave barrier
	s_waitcnt lgkmcnt(0)
	s_and_saveexec_b64 s[4:5], s[0:1]
	s_cbranch_execz .LBB0_21
; %bb.20:
	v_lshl_add_u32 v10, v52, 4, 0
	v_mov_b32_e32 v53, 0
	ds_read_b128 v[0:3], v10
	v_mov_b32_e32 v4, s3
	v_add_co_u32_e32 v11, vcc, s2, v54
	v_addc_co_u32_e32 v12, vcc, v4, v55, vcc
	v_lshlrev_b64 v[4:5], 4, v[52:53]
	v_add_co_u32_e32 v8, vcc, v11, v4
	v_addc_co_u32_e32 v9, vcc, v12, v5, vcc
	ds_read_b128 v[4:7], v10 offset:832
	s_waitcnt lgkmcnt(1)
	global_store_dwordx4 v[8:9], v[0:3], off
	s_nop 0
	v_add_u32_e32 v0, 52, v52
	v_mov_b32_e32 v1, v53
	v_lshlrev_b64 v[0:1], 4, v[0:1]
	v_add_co_u32_e32 v0, vcc, v11, v0
	v_addc_co_u32_e32 v1, vcc, v12, v1, vcc
	s_waitcnt lgkmcnt(0)
	global_store_dwordx4 v[0:1], v[4:7], off
	ds_read_b128 v[0:3], v10 offset:1664
	v_add_u32_e32 v4, 0x68, v52
	v_mov_b32_e32 v5, v53
	v_lshlrev_b64 v[4:5], 4, v[4:5]
	v_add_co_u32_e32 v8, vcc, v11, v4
	v_addc_co_u32_e32 v9, vcc, v12, v5, vcc
	ds_read_b128 v[4:7], v10 offset:2496
	s_waitcnt lgkmcnt(1)
	global_store_dwordx4 v[8:9], v[0:3], off
	s_nop 0
	v_add_u32_e32 v0, 0x9c, v52
	v_mov_b32_e32 v1, v53
	v_lshlrev_b64 v[0:1], 4, v[0:1]
	v_add_co_u32_e32 v0, vcc, v11, v0
	v_addc_co_u32_e32 v1, vcc, v12, v1, vcc
	s_waitcnt lgkmcnt(0)
	global_store_dwordx4 v[0:1], v[4:7], off
	ds_read_b128 v[0:3], v10 offset:3328
	v_add_u32_e32 v4, 0xd0, v52
	v_mov_b32_e32 v5, v53
	;; [unrolled: 17-line block ×5, first 2 shown]
	v_lshlrev_b64 v[4:5], 4, v[4:5]
	v_add_u32_e32 v52, 0x23c, v52
	v_add_co_u32_e32 v8, vcc, v11, v4
	v_addc_co_u32_e32 v9, vcc, v12, v5, vcc
	ds_read_b128 v[4:7], v10 offset:9152
	s_waitcnt lgkmcnt(1)
	global_store_dwordx4 v[8:9], v[0:3], off
	s_nop 0
	v_lshlrev_b64 v[0:1], 4, v[52:53]
	v_add_co_u32_e32 v0, vcc, v11, v0
	v_addc_co_u32_e32 v1, vcc, v12, v1, vcc
	s_waitcnt lgkmcnt(0)
	global_store_dwordx4 v[0:1], v[4:7], off
.LBB0_21:
	s_endpgm
	.section	.rodata,"a",@progbits
	.p2align	6, 0x0
	.amdhsa_kernel fft_rtc_fwd_len624_factors_13_4_6_2_wgs_52_tpt_52_dp_ip_CI_unitstride_sbrr_C2R_dirReg
		.amdhsa_group_segment_fixed_size 0
		.amdhsa_private_segment_fixed_size 0
		.amdhsa_kernarg_size 88
		.amdhsa_user_sgpr_count 6
		.amdhsa_user_sgpr_private_segment_buffer 1
		.amdhsa_user_sgpr_dispatch_ptr 0
		.amdhsa_user_sgpr_queue_ptr 0
		.amdhsa_user_sgpr_kernarg_segment_ptr 1
		.amdhsa_user_sgpr_dispatch_id 0
		.amdhsa_user_sgpr_flat_scratch_init 0
		.amdhsa_user_sgpr_private_segment_size 0
		.amdhsa_uses_dynamic_stack 0
		.amdhsa_system_sgpr_private_segment_wavefront_offset 0
		.amdhsa_system_sgpr_workgroup_id_x 1
		.amdhsa_system_sgpr_workgroup_id_y 0
		.amdhsa_system_sgpr_workgroup_id_z 0
		.amdhsa_system_sgpr_workgroup_info 0
		.amdhsa_system_vgpr_workitem_id 0
		.amdhsa_next_free_vgpr 123
		.amdhsa_next_free_sgpr 46
		.amdhsa_reserve_vcc 1
		.amdhsa_reserve_flat_scratch 0
		.amdhsa_float_round_mode_32 0
		.amdhsa_float_round_mode_16_64 0
		.amdhsa_float_denorm_mode_32 3
		.amdhsa_float_denorm_mode_16_64 3
		.amdhsa_dx10_clamp 1
		.amdhsa_ieee_mode 1
		.amdhsa_fp16_overflow 0
		.amdhsa_exception_fp_ieee_invalid_op 0
		.amdhsa_exception_fp_denorm_src 0
		.amdhsa_exception_fp_ieee_div_zero 0
		.amdhsa_exception_fp_ieee_overflow 0
		.amdhsa_exception_fp_ieee_underflow 0
		.amdhsa_exception_fp_ieee_inexact 0
		.amdhsa_exception_int_div_zero 0
	.end_amdhsa_kernel
	.text
.Lfunc_end0:
	.size	fft_rtc_fwd_len624_factors_13_4_6_2_wgs_52_tpt_52_dp_ip_CI_unitstride_sbrr_C2R_dirReg, .Lfunc_end0-fft_rtc_fwd_len624_factors_13_4_6_2_wgs_52_tpt_52_dp_ip_CI_unitstride_sbrr_C2R_dirReg
                                        ; -- End function
	.section	.AMDGPU.csdata,"",@progbits
; Kernel info:
; codeLenInByte = 10248
; NumSgprs: 50
; NumVgprs: 123
; ScratchSize: 0
; MemoryBound: 0
; FloatMode: 240
; IeeeMode: 1
; LDSByteSize: 0 bytes/workgroup (compile time only)
; SGPRBlocks: 6
; VGPRBlocks: 30
; NumSGPRsForWavesPerEU: 50
; NumVGPRsForWavesPerEU: 123
; Occupancy: 2
; WaveLimiterHint : 1
; COMPUTE_PGM_RSRC2:SCRATCH_EN: 0
; COMPUTE_PGM_RSRC2:USER_SGPR: 6
; COMPUTE_PGM_RSRC2:TRAP_HANDLER: 0
; COMPUTE_PGM_RSRC2:TGID_X_EN: 1
; COMPUTE_PGM_RSRC2:TGID_Y_EN: 0
; COMPUTE_PGM_RSRC2:TGID_Z_EN: 0
; COMPUTE_PGM_RSRC2:TIDIG_COMP_CNT: 0
	.type	__hip_cuid_421c178cfe3c85f3,@object ; @__hip_cuid_421c178cfe3c85f3
	.section	.bss,"aw",@nobits
	.globl	__hip_cuid_421c178cfe3c85f3
__hip_cuid_421c178cfe3c85f3:
	.byte	0                               ; 0x0
	.size	__hip_cuid_421c178cfe3c85f3, 1

	.ident	"AMD clang version 19.0.0git (https://github.com/RadeonOpenCompute/llvm-project roc-6.4.0 25133 c7fe45cf4b819c5991fe208aaa96edf142730f1d)"
	.section	".note.GNU-stack","",@progbits
	.addrsig
	.addrsig_sym __hip_cuid_421c178cfe3c85f3
	.amdgpu_metadata
---
amdhsa.kernels:
  - .args:
      - .actual_access:  read_only
        .address_space:  global
        .offset:         0
        .size:           8
        .value_kind:     global_buffer
      - .offset:         8
        .size:           8
        .value_kind:     by_value
      - .actual_access:  read_only
        .address_space:  global
        .offset:         16
        .size:           8
        .value_kind:     global_buffer
      - .actual_access:  read_only
        .address_space:  global
        .offset:         24
        .size:           8
        .value_kind:     global_buffer
      - .offset:         32
        .size:           8
        .value_kind:     by_value
      - .actual_access:  read_only
        .address_space:  global
        .offset:         40
        .size:           8
        .value_kind:     global_buffer
      - .actual_access:  read_only
        .address_space:  global
        .offset:         48
        .size:           8
        .value_kind:     global_buffer
      - .offset:         56
        .size:           4
        .value_kind:     by_value
      - .actual_access:  read_only
        .address_space:  global
        .offset:         64
        .size:           8
        .value_kind:     global_buffer
      - .actual_access:  read_only
        .address_space:  global
        .offset:         72
        .size:           8
        .value_kind:     global_buffer
      - .address_space:  global
        .offset:         80
        .size:           8
        .value_kind:     global_buffer
    .group_segment_fixed_size: 0
    .kernarg_segment_align: 8
    .kernarg_segment_size: 88
    .language:       OpenCL C
    .language_version:
      - 2
      - 0
    .max_flat_workgroup_size: 52
    .name:           fft_rtc_fwd_len624_factors_13_4_6_2_wgs_52_tpt_52_dp_ip_CI_unitstride_sbrr_C2R_dirReg
    .private_segment_fixed_size: 0
    .sgpr_count:     50
    .sgpr_spill_count: 0
    .symbol:         fft_rtc_fwd_len624_factors_13_4_6_2_wgs_52_tpt_52_dp_ip_CI_unitstride_sbrr_C2R_dirReg.kd
    .uniform_work_group_size: 1
    .uses_dynamic_stack: false
    .vgpr_count:     123
    .vgpr_spill_count: 0
    .wavefront_size: 64
amdhsa.target:   amdgcn-amd-amdhsa--gfx906
amdhsa.version:
  - 1
  - 2
...

	.end_amdgpu_metadata
